;; amdgpu-corpus repo=ROCm/rocFFT kind=compiled arch=gfx1030 opt=O3
	.text
	.amdgcn_target "amdgcn-amd-amdhsa--gfx1030"
	.amdhsa_code_object_version 6
	.protected	fft_rtc_fwd_len875_factors_7_5_5_5_wgs_175_tpt_175_sp_op_CI_CI_sbrr_dirReg ; -- Begin function fft_rtc_fwd_len875_factors_7_5_5_5_wgs_175_tpt_175_sp_op_CI_CI_sbrr_dirReg
	.globl	fft_rtc_fwd_len875_factors_7_5_5_5_wgs_175_tpt_175_sp_op_CI_CI_sbrr_dirReg
	.p2align	8
	.type	fft_rtc_fwd_len875_factors_7_5_5_5_wgs_175_tpt_175_sp_op_CI_CI_sbrr_dirReg,@function
fft_rtc_fwd_len875_factors_7_5_5_5_wgs_175_tpt_175_sp_op_CI_CI_sbrr_dirReg: ; @fft_rtc_fwd_len875_factors_7_5_5_5_wgs_175_tpt_175_sp_op_CI_CI_sbrr_dirReg
; %bb.0:
	s_clause 0x2
	s_load_dwordx4 s[16:19], s[4:5], 0x18
	s_load_dwordx4 s[12:15], s[4:5], 0x0
	;; [unrolled: 1-line block ×3, first 2 shown]
	v_mul_u32_u24_e32 v1, 0x177, v0
	v_mov_b32_e32 v7, 0
	v_mov_b32_e32 v5, 0
	;; [unrolled: 1-line block ×3, first 2 shown]
	s_waitcnt lgkmcnt(0)
	s_load_dwordx2 s[20:21], s[16:17], 0x0
	s_load_dwordx2 s[2:3], s[18:19], 0x0
	v_cmp_lt_u64_e64 s0, s[14:15], 2
	v_add_nc_u32_sdwa v9, s6, v1 dst_sel:DWORD dst_unused:UNUSED_PAD src0_sel:DWORD src1_sel:WORD_1
	v_mov_b32_e32 v10, v7
	s_and_b32 vcc_lo, exec_lo, s0
	s_cbranch_vccnz .LBB0_8
; %bb.1:
	s_load_dwordx2 s[0:1], s[4:5], 0x10
	v_mov_b32_e32 v5, 0
	v_mov_b32_e32 v6, 0
	s_add_u32 s6, s18, 8
	s_addc_u32 s7, s19, 0
	v_mov_b32_e32 v1, v5
	s_add_u32 s22, s16, 8
	v_mov_b32_e32 v2, v6
	s_addc_u32 s23, s17, 0
	s_mov_b64 s[26:27], 1
	s_waitcnt lgkmcnt(0)
	s_add_u32 s24, s0, 8
	s_addc_u32 s25, s1, 0
.LBB0_2:                                ; =>This Inner Loop Header: Depth=1
	s_load_dwordx2 s[28:29], s[24:25], 0x0
                                        ; implicit-def: $vgpr3_vgpr4
	s_mov_b32 s0, exec_lo
	s_waitcnt lgkmcnt(0)
	v_or_b32_e32 v8, s29, v10
	v_cmpx_ne_u64_e32 0, v[7:8]
	s_xor_b32 s1, exec_lo, s0
	s_cbranch_execz .LBB0_4
; %bb.3:                                ;   in Loop: Header=BB0_2 Depth=1
	v_cvt_f32_u32_e32 v3, s28
	v_cvt_f32_u32_e32 v4, s29
	s_sub_u32 s0, 0, s28
	s_subb_u32 s30, 0, s29
	v_fmac_f32_e32 v3, 0x4f800000, v4
	v_rcp_f32_e32 v3, v3
	v_mul_f32_e32 v3, 0x5f7ffffc, v3
	v_mul_f32_e32 v4, 0x2f800000, v3
	v_trunc_f32_e32 v4, v4
	v_fmac_f32_e32 v3, 0xcf800000, v4
	v_cvt_u32_f32_e32 v4, v4
	v_cvt_u32_f32_e32 v3, v3
	v_mul_lo_u32 v8, s0, v4
	v_mul_hi_u32 v11, s0, v3
	v_mul_lo_u32 v12, s30, v3
	v_add_nc_u32_e32 v8, v11, v8
	v_mul_lo_u32 v11, s0, v3
	v_add_nc_u32_e32 v8, v8, v12
	v_mul_hi_u32 v12, v3, v11
	v_mul_lo_u32 v13, v3, v8
	v_mul_hi_u32 v14, v3, v8
	v_mul_hi_u32 v15, v4, v11
	v_mul_lo_u32 v11, v4, v11
	v_mul_hi_u32 v16, v4, v8
	v_mul_lo_u32 v8, v4, v8
	v_add_co_u32 v12, vcc_lo, v12, v13
	v_add_co_ci_u32_e32 v13, vcc_lo, 0, v14, vcc_lo
	v_add_co_u32 v11, vcc_lo, v12, v11
	v_add_co_ci_u32_e32 v11, vcc_lo, v13, v15, vcc_lo
	v_add_co_ci_u32_e32 v12, vcc_lo, 0, v16, vcc_lo
	v_add_co_u32 v8, vcc_lo, v11, v8
	v_add_co_ci_u32_e32 v11, vcc_lo, 0, v12, vcc_lo
	v_add_co_u32 v3, vcc_lo, v3, v8
	v_add_co_ci_u32_e32 v4, vcc_lo, v4, v11, vcc_lo
	v_mul_hi_u32 v8, s0, v3
	v_mul_lo_u32 v12, s30, v3
	v_mul_lo_u32 v11, s0, v4
	v_add_nc_u32_e32 v8, v8, v11
	v_mul_lo_u32 v11, s0, v3
	v_add_nc_u32_e32 v8, v8, v12
	v_mul_hi_u32 v12, v3, v11
	v_mul_lo_u32 v13, v3, v8
	v_mul_hi_u32 v14, v3, v8
	v_mul_hi_u32 v15, v4, v11
	v_mul_lo_u32 v11, v4, v11
	v_mul_hi_u32 v16, v4, v8
	v_mul_lo_u32 v8, v4, v8
	v_add_co_u32 v12, vcc_lo, v12, v13
	v_add_co_ci_u32_e32 v13, vcc_lo, 0, v14, vcc_lo
	v_add_co_u32 v11, vcc_lo, v12, v11
	v_add_co_ci_u32_e32 v11, vcc_lo, v13, v15, vcc_lo
	v_add_co_ci_u32_e32 v12, vcc_lo, 0, v16, vcc_lo
	v_add_co_u32 v8, vcc_lo, v11, v8
	v_add_co_ci_u32_e32 v11, vcc_lo, 0, v12, vcc_lo
	v_add_co_u32 v8, vcc_lo, v3, v8
	v_add_co_ci_u32_e32 v13, vcc_lo, v4, v11, vcc_lo
	v_mul_hi_u32 v15, v9, v8
	v_mad_u64_u32 v[11:12], null, v10, v8, 0
	v_mad_u64_u32 v[3:4], null, v9, v13, 0
	v_mad_u64_u32 v[13:14], null, v10, v13, 0
	v_add_co_u32 v3, vcc_lo, v15, v3
	v_add_co_ci_u32_e32 v4, vcc_lo, 0, v4, vcc_lo
	v_add_co_u32 v3, vcc_lo, v3, v11
	v_add_co_ci_u32_e32 v3, vcc_lo, v4, v12, vcc_lo
	v_add_co_ci_u32_e32 v4, vcc_lo, 0, v14, vcc_lo
	v_add_co_u32 v8, vcc_lo, v3, v13
	v_add_co_ci_u32_e32 v11, vcc_lo, 0, v4, vcc_lo
	v_mul_lo_u32 v12, s29, v8
	v_mad_u64_u32 v[3:4], null, s28, v8, 0
	v_mul_lo_u32 v13, s28, v11
	v_sub_co_u32 v3, vcc_lo, v9, v3
	v_add3_u32 v4, v4, v13, v12
	v_sub_nc_u32_e32 v12, v10, v4
	v_subrev_co_ci_u32_e64 v12, s0, s29, v12, vcc_lo
	v_add_co_u32 v13, s0, v8, 2
	v_add_co_ci_u32_e64 v14, s0, 0, v11, s0
	v_sub_co_u32 v15, s0, v3, s28
	v_sub_co_ci_u32_e32 v4, vcc_lo, v10, v4, vcc_lo
	v_subrev_co_ci_u32_e64 v12, s0, 0, v12, s0
	v_cmp_le_u32_e32 vcc_lo, s28, v15
	v_cmp_eq_u32_e64 s0, s29, v4
	v_cndmask_b32_e64 v15, 0, -1, vcc_lo
	v_cmp_le_u32_e32 vcc_lo, s29, v12
	v_cndmask_b32_e64 v16, 0, -1, vcc_lo
	v_cmp_le_u32_e32 vcc_lo, s28, v3
	;; [unrolled: 2-line block ×3, first 2 shown]
	v_cndmask_b32_e64 v17, 0, -1, vcc_lo
	v_cmp_eq_u32_e32 vcc_lo, s29, v12
	v_cndmask_b32_e64 v3, v17, v3, s0
	v_cndmask_b32_e32 v12, v16, v15, vcc_lo
	v_add_co_u32 v15, vcc_lo, v8, 1
	v_add_co_ci_u32_e32 v16, vcc_lo, 0, v11, vcc_lo
	v_cmp_ne_u32_e32 vcc_lo, 0, v12
	v_cndmask_b32_e32 v4, v16, v14, vcc_lo
	v_cndmask_b32_e32 v12, v15, v13, vcc_lo
	v_cmp_ne_u32_e32 vcc_lo, 0, v3
	v_cndmask_b32_e32 v4, v11, v4, vcc_lo
	v_cndmask_b32_e32 v3, v8, v12, vcc_lo
.LBB0_4:                                ;   in Loop: Header=BB0_2 Depth=1
	s_andn2_saveexec_b32 s0, s1
	s_cbranch_execz .LBB0_6
; %bb.5:                                ;   in Loop: Header=BB0_2 Depth=1
	v_cvt_f32_u32_e32 v3, s28
	s_sub_i32 s1, 0, s28
	v_rcp_iflag_f32_e32 v3, v3
	v_mul_f32_e32 v3, 0x4f7ffffe, v3
	v_cvt_u32_f32_e32 v3, v3
	v_mul_lo_u32 v4, s1, v3
	v_mul_hi_u32 v4, v3, v4
	v_add_nc_u32_e32 v3, v3, v4
	v_mul_hi_u32 v3, v9, v3
	v_mul_lo_u32 v4, v3, s28
	v_add_nc_u32_e32 v8, 1, v3
	v_sub_nc_u32_e32 v4, v9, v4
	v_subrev_nc_u32_e32 v11, s28, v4
	v_cmp_le_u32_e32 vcc_lo, s28, v4
	v_cndmask_b32_e32 v4, v4, v11, vcc_lo
	v_cndmask_b32_e32 v3, v3, v8, vcc_lo
	v_cmp_le_u32_e32 vcc_lo, s28, v4
	v_add_nc_u32_e32 v8, 1, v3
	v_mov_b32_e32 v4, v7
	v_cndmask_b32_e32 v3, v3, v8, vcc_lo
.LBB0_6:                                ;   in Loop: Header=BB0_2 Depth=1
	s_or_b32 exec_lo, exec_lo, s0
	v_mul_lo_u32 v8, v4, s28
	v_mul_lo_u32 v13, v3, s29
	s_load_dwordx2 s[0:1], s[22:23], 0x0
	v_mad_u64_u32 v[11:12], null, v3, s28, 0
	s_load_dwordx2 s[28:29], s[6:7], 0x0
	s_add_u32 s26, s26, 1
	s_addc_u32 s27, s27, 0
	s_add_u32 s6, s6, 8
	s_addc_u32 s7, s7, 0
	s_add_u32 s22, s22, 8
	v_add3_u32 v8, v12, v13, v8
	v_sub_co_u32 v9, vcc_lo, v9, v11
	s_addc_u32 s23, s23, 0
	s_add_u32 s24, s24, 8
	v_sub_co_ci_u32_e32 v8, vcc_lo, v10, v8, vcc_lo
	s_addc_u32 s25, s25, 0
	s_waitcnt lgkmcnt(0)
	v_mul_lo_u32 v10, s0, v8
	v_mul_lo_u32 v11, s1, v9
	v_mad_u64_u32 v[5:6], null, s0, v9, v[5:6]
	v_mul_lo_u32 v8, s28, v8
	v_mul_lo_u32 v12, s29, v9
	v_mad_u64_u32 v[1:2], null, s28, v9, v[1:2]
	v_cmp_ge_u64_e64 s0, s[26:27], s[14:15]
	v_add3_u32 v6, v11, v6, v10
	v_add3_u32 v2, v12, v2, v8
	s_and_b32 vcc_lo, exec_lo, s0
	s_cbranch_vccnz .LBB0_9
; %bb.7:                                ;   in Loop: Header=BB0_2 Depth=1
	v_mov_b32_e32 v10, v4
	v_mov_b32_e32 v9, v3
	s_branch .LBB0_2
.LBB0_8:
	v_mov_b32_e32 v1, v5
	v_mov_b32_e32 v3, v9
	;; [unrolled: 1-line block ×4, first 2 shown]
.LBB0_9:
	s_load_dwordx2 s[0:1], s[4:5], 0x28
	s_lshl_b64 s[6:7], s[14:15], 3
	v_mul_hi_u32 v9, 0x1767dcf, v0
	s_add_u32 s4, s18, s6
	s_addc_u32 s5, s19, s7
	v_mov_b32_e32 v8, 0
	s_load_dwordx2 s[4:5], s[4:5], 0x0
	v_mov_b32_e32 v21, 0
	v_mov_b32_e32 v7, 0
	;; [unrolled: 1-line block ×3, first 2 shown]
	v_mul_u32_u24_e32 v13, 0xaf, v9
	v_mov_b32_e32 v9, 0
	v_mov_b32_e32 v12, 0
	;; [unrolled: 1-line block ×4, first 2 shown]
	v_sub_nc_u32_e32 v0, v0, v13
	v_mov_b32_e32 v13, 0
                                        ; implicit-def: $vgpr16
                                        ; implicit-def: $vgpr18
                                        ; implicit-def: $vgpr20
	s_waitcnt lgkmcnt(0)
	v_cmp_gt_u64_e32 vcc_lo, s[0:1], v[3:4]
	s_and_saveexec_b32 s1, vcc_lo
	s_cbranch_execz .LBB0_13
; %bb.10:
	v_mov_b32_e32 v13, 0
	v_mov_b32_e32 v14, 0
	;; [unrolled: 1-line block ×8, first 2 shown]
	s_mov_b32 s14, exec_lo
                                        ; implicit-def: $vgpr19
                                        ; implicit-def: $vgpr17
                                        ; implicit-def: $vgpr15
	v_cmpx_gt_u32_e32 0x7d, v0
	s_cbranch_execz .LBB0_12
; %bb.11:
	s_add_u32 s6, s16, s6
	s_addc_u32 s7, s17, s7
	v_add_nc_u32_e32 v18, 0x7d, v0
	s_load_dwordx2 s[6:7], s[6:7], 0x0
	v_mad_u64_u32 v[7:8], null, s20, v0, 0
	v_add_nc_u32_e32 v21, 0xfa, v0
	v_mad_u64_u32 v[9:10], null, s20, v18, 0
	v_add_nc_u32_e32 v22, 0x177, v0
	v_add_nc_u32_e32 v23, 0x1f4, v0
	v_mad_u64_u32 v[11:12], null, s20, v21, 0
	v_lshlrev_b64 v[5:6], 3, v[5:6]
	v_add_nc_u32_e32 v24, 0x271, v0
	v_mad_u64_u32 v[15:16], null, s21, v0, v[8:9]
	v_mov_b32_e32 v8, v10
	v_mad_u64_u32 v[16:17], null, s20, v22, 0
	v_mov_b32_e32 v10, v12
	s_waitcnt lgkmcnt(0)
	v_mul_lo_u32 v19, s7, v3
	v_mul_lo_u32 v20, s6, v4
	v_mad_u64_u32 v[13:14], null, s6, v3, 0
	v_add3_u32 v14, v14, v20, v19
	v_mad_u64_u32 v[18:19], null, s21, v18, v[8:9]
	v_mov_b32_e32 v8, v15
	v_mad_u64_u32 v[19:20], null, s20, v23, 0
	v_lshlrev_b64 v[12:13], 3, v[13:14]
	v_mad_u64_u32 v[14:15], null, s21, v21, v[10:11]
	v_mov_b32_e32 v15, v17
	v_mov_b32_e32 v10, v18
	v_add_nc_u32_e32 v18, 0x2ee, v0
	v_add_co_u32 v17, s0, s8, v12
	v_add_co_ci_u32_e64 v13, s0, s9, v13, s0
	v_mov_b32_e32 v12, v14
	v_add_co_u32 v25, s0, v17, v5
	v_add_co_ci_u32_e64 v26, s0, v13, v6, s0
	v_lshlrev_b64 v[5:6], 3, v[9:10]
	v_mad_u64_u32 v[9:10], null, s21, v22, v[15:16]
	v_mov_b32_e32 v10, v20
	v_mad_u64_u32 v[13:14], null, s20, v24, 0
	v_lshlrev_b64 v[7:8], 3, v[7:8]
	v_mad_u64_u32 v[20:21], null, s21, v23, v[10:11]
	v_mad_u64_u32 v[21:22], null, s20, v18, 0
	v_lshlrev_b64 v[11:12], 3, v[11:12]
	v_add_co_u32 v7, s0, v25, v7
	v_mov_b32_e32 v10, v14
	v_add_co_ci_u32_e64 v8, s0, v26, v8, s0
	v_add_co_u32 v5, s0, v25, v5
	v_add_co_ci_u32_e64 v6, s0, v26, v6, s0
	v_mov_b32_e32 v17, v9
	v_mad_u64_u32 v[9:10], null, s21, v24, v[10:11]
	v_mov_b32_e32 v10, v22
	v_add_co_u32 v11, s0, v25, v11
	v_lshlrev_b64 v[15:16], 3, v[16:17]
	v_add_co_ci_u32_e64 v12, s0, v26, v12, s0
	v_mad_u64_u32 v[17:18], null, s21, v18, v[10:11]
	v_mov_b32_e32 v14, v9
	v_lshlrev_b64 v[18:19], 3, v[19:20]
	v_add_co_u32 v15, s0, v25, v15
	v_add_co_ci_u32_e64 v16, s0, v26, v16, s0
	v_mov_b32_e32 v22, v17
	v_lshlrev_b64 v[9:10], 3, v[13:14]
	v_add_co_u32 v13, s0, v25, v18
	v_add_co_ci_u32_e64 v14, s0, v26, v19, s0
	v_lshlrev_b64 v[17:18], 3, v[21:22]
	v_add_co_u32 v21, s0, v25, v9
	v_add_co_ci_u32_e64 v22, s0, v26, v10, s0
	v_add_co_u32 v23, s0, v25, v17
	v_add_co_ci_u32_e64 v24, s0, v26, v18, s0
	s_clause 0x6
	global_load_dwordx2 v[7:8], v[7:8], off
	global_load_dwordx2 v[9:10], v[5:6], off
	;; [unrolled: 1-line block ×7, first 2 shown]
.LBB0_12:
	s_or_b32 exec_lo, exec_lo, s14
	v_mov_b32_e32 v21, v0
.LBB0_13:
	s_or_b32 exec_lo, exec_lo, s1
	s_mov_b32 s1, exec_lo
	v_cmpx_gt_u32_e32 0x7d, v0
	s_cbranch_execz .LBB0_15
; %bb.14:
	s_waitcnt vmcnt(0)
	v_add_f32_e32 v22, v10, v16
	v_add_f32_e32 v23, v12, v18
	;; [unrolled: 1-line block ×3, first 2 shown]
	v_sub_f32_e32 v24, v9, v15
	v_sub_f32_e32 v5, v13, v19
	;; [unrolled: 1-line block ×3, first 2 shown]
	v_add_f32_e32 v26, v22, v23
	v_sub_f32_e32 v29, v6, v23
	v_sub_f32_e32 v30, v22, v6
	;; [unrolled: 1-line block ×4, first 2 shown]
	v_add_f32_e32 v26, v26, v6
	v_add_f32_e32 v5, v25, v5
	v_mul_f32_e32 v29, 0x3d64c772, v29
	v_add_f32_e32 v9, v9, v15
	v_add_f32_e32 v11, v11, v17
	;; [unrolled: 1-line block ×4, first 2 shown]
	v_fmamk_f32 v5, v30, 0x3f4a47b2, v29
	v_add_f32_e32 v13, v13, v19
	v_sub_f32_e32 v14, v14, v20
	v_fmamk_f32 v26, v26, 0xbf955555, v6
	v_sub_f32_e32 v12, v12, v18
	v_sub_f32_e32 v10, v10, v16
	;; [unrolled: 1-line block ×3, first 2 shown]
	v_mul_f32_e32 v19, 0x3f4a47b2, v30
	v_add_f32_e32 v17, v5, v26
	v_add_f32_e32 v5, v9, v11
	v_sub_f32_e32 v16, v14, v12
	v_mul_f32_e32 v18, 0x3d64c772, v18
	v_sub_f32_e32 v30, v10, v14
	v_sub_f32_e32 v22, v23, v22
	v_add_f32_e32 v20, v5, v13
	v_sub_f32_e32 v13, v9, v13
	v_mul_f32_e32 v28, 0xbf08b237, v28
	v_mul_f32_e32 v16, 0xbf08b237, v16
	v_sub_f32_e32 v9, v11, v9
	v_add_f32_e32 v5, v7, v20
	v_add_f32_e32 v7, v12, v14
	v_sub_f32_e32 v14, v25, v24
	v_fmamk_f32 v24, v13, 0x3f4a47b2, v18
	v_mul_f32_e32 v13, 0x3f4a47b2, v13
	v_fmamk_f32 v20, v20, 0xbf955555, v5
	v_add_f32_e32 v32, v10, v7
	v_sub_f32_e32 v10, v12, v10
	v_mul_f32_e32 v7, 0x3f5ff5aa, v14
	v_fma_f32 v19, 0xbf3bfb3b, v22, -v19
	v_add_f32_e32 v23, v24, v20
	v_fmamk_f32 v31, v27, 0x3eae86e6, v28
	v_mul_f32_e32 v12, 0x3f5ff5aa, v10
	v_fma_f32 v24, 0xbeae86e6, v27, -v7
	v_fmamk_f32 v25, v30, 0x3eae86e6, v16
	v_fma_f32 v11, 0xbf3bfb3b, v9, -v13
	v_fma_f32 v9, 0x3f3bfb3b, v9, -v18
	;; [unrolled: 1-line block ×6, first 2 shown]
	v_fmac_f32_e32 v24, 0x3ee1c552, v15
	v_add_f32_e32 v19, v19, v26
	v_fmac_f32_e32 v31, 0x3ee1c552, v15
	v_fmac_f32_e32 v25, 0x3ee1c552, v32
	v_add_f32_e32 v9, v9, v20
	v_add_f32_e32 v20, v11, v20
	v_fmac_f32_e32 v27, 0x3ee1c552, v32
	v_add_f32_e32 v13, v13, v26
	v_fmac_f32_e32 v14, 0x3ee1c552, v15
	v_fmac_f32_e32 v22, 0x3ee1c552, v32
	v_add_f32_e32 v10, v19, v24
	v_sub_f32_e32 v16, v19, v24
	v_mad_u32_u24 v19, v0, 56, 0
	v_add_f32_e32 v8, v17, v31
	v_add_f32_e32 v15, v27, v20
	v_sub_f32_e32 v18, v17, v31
	v_add_f32_e32 v17, v25, v23
	v_sub_f32_e32 v12, v13, v14
	v_add_f32_e32 v11, v22, v9
	v_add_f32_e32 v14, v13, v14
	v_sub_f32_e32 v13, v9, v22
	v_sub_f32_e32 v7, v23, v25
	;; [unrolled: 1-line block ×3, first 2 shown]
	ds_write_b64 v19, v[5:6]
	ds_write2_b64 v19, v[17:18], v[15:16] offset0:1 offset1:2
	ds_write2_b64 v19, v[13:14], v[11:12] offset0:3 offset1:4
	;; [unrolled: 1-line block ×3, first 2 shown]
.LBB0_15:
	s_or_b32 exec_lo, exec_lo, s1
	s_waitcnt vmcnt(6)
	v_and_b32_e32 v7, 0xff, v0
	v_mov_b32_e32 v28, 5
	s_waitcnt vmcnt(0) lgkmcnt(0)
	s_barrier
	buffer_gl0_inv
	v_mul_lo_u16 v5, v7, 37
	v_mul_lo_u16 v22, 0xeb, v7
	v_mov_b32_e32 v30, 0x118
	v_mov_b32_e32 v31, 3
	v_lshrrev_b16 v5, 8, v5
	v_lshrrev_b16 v29, 13, v22
	v_sub_nc_u16 v6, v0, v5
	v_mul_lo_u16 v27, v29, 35
	v_lshrrev_b16 v6, 1, v6
	v_sub_nc_u16 v32, v0, v27
	v_and_b32_e32 v6, 0x7f, v6
	v_add_nc_u16 v5, v6, v5
	v_lshrrev_b16 v20, 2, v5
	v_mul_lo_u16 v5, v20, 7
	v_mul_u32_u24_sdwa v20, v20, v30 dst_sel:DWORD dst_unused:UNUSED_PAD src0_sel:WORD_0 src1_sel:DWORD
	v_sub_nc_u16 v26, v0, v5
	v_lshlrev_b32_sdwa v5, v28, v26 dst_sel:DWORD dst_unused:UNUSED_PAD src0_sel:DWORD src1_sel:BYTE_0
	v_lshlrev_b32_sdwa v30, v31, v26 dst_sel:DWORD dst_unused:UNUSED_PAD src0_sel:DWORD src1_sel:BYTE_0
	;; [unrolled: 1-line block ×3, first 2 shown]
	s_clause 0x1
	global_load_dwordx4 v[8:11], v5, s[12:13]
	global_load_dwordx4 v[12:15], v5, s[12:13] offset:16
	v_lshl_add_u32 v5, v0, 3, 0
	v_add3_u32 v20, 0, v20, v30
	v_add_nc_u32_e32 v6, 0x400, v5
	v_add_nc_u32_e32 v7, 0x1000, v5
	ds_read2_b32 v[26:27], v5 offset1:1
	ds_read2_b64 v[16:19], v6 offset0:47 offset1:222
	ds_read2_b64 v[22:25], v7 offset0:13 offset1:188
	s_waitcnt vmcnt(0) lgkmcnt(0)
	s_barrier
	buffer_gl0_inv
	v_mul_f32_e32 v30, v9, v17
	v_mul_f32_e32 v9, v9, v16
	;; [unrolled: 1-line block ×8, first 2 shown]
	v_fma_f32 v16, v8, v16, -v30
	v_fmac_f32_e32 v9, v8, v17
	v_fma_f32 v8, v10, v18, -v33
	v_fmac_f32_e32 v11, v10, v19
	;; [unrolled: 2-line block ×3, first 2 shown]
	v_fmac_f32_e32 v15, v14, v25
	v_fma_f32 v14, v14, v24, -v35
	v_add_f32_e32 v12, v16, v26
	v_add_f32_e32 v17, v8, v10
	;; [unrolled: 1-line block ×6, first 2 shown]
	v_sub_f32_e32 v18, v9, v15
	v_sub_f32_e32 v19, v11, v13
	;; [unrolled: 1-line block ×10, first 2 shown]
	v_add_f32_e32 v12, v12, v8
	v_fma_f32 v8, -0.5, v17, v26
	v_add_f32_e32 v11, v33, v11
	v_fma_f32 v9, -0.5, v34, v27
	v_fma_f32 v26, -0.5, v24, v26
	v_fmac_f32_e32 v27, -0.5, v38
	v_sub_f32_e32 v37, v15, v13
	v_add_f32_e32 v17, v22, v23
	v_add_f32_e32 v22, v25, v30
	;; [unrolled: 1-line block ×3, first 2 shown]
	v_fmamk_f32 v10, v18, 0x3f737871, v8
	v_add_f32_e32 v30, v11, v13
	v_fmamk_f32 v11, v16, 0xbf737871, v9
	v_sub_f32_e32 v40, v13, v15
	v_fmamk_f32 v12, v19, 0xbf737871, v26
	v_fmac_f32_e32 v26, 0x3f737871, v19
	v_fmamk_f32 v13, v35, 0x3f737871, v27
	v_fmac_f32_e32 v27, 0xbf737871, v35
	v_fmac_f32_e32 v8, 0xbf737871, v18
	;; [unrolled: 1-line block ×3, first 2 shown]
	v_add_f32_e32 v23, v36, v37
	v_fmac_f32_e32 v10, 0x3f167918, v19
	v_fmac_f32_e32 v11, 0xbf167918, v35
	v_add_f32_e32 v24, v39, v40
	v_fmac_f32_e32 v12, 0x3f167918, v18
	v_fmac_f32_e32 v26, 0xbf167918, v18
	;; [unrolled: 1-line block ×6, first 2 shown]
	v_add_f32_e32 v14, v25, v14
	v_add_f32_e32 v15, v30, v15
	v_fmac_f32_e32 v10, 0x3e9e377a, v17
	v_fmac_f32_e32 v11, 0x3e9e377a, v23
	;; [unrolled: 1-line block ×8, first 2 shown]
	ds_write2_b64 v20, v[14:15], v[10:11] offset1:7
	ds_write2_b64 v20, v[12:13], v[26:27] offset0:14 offset1:21
	ds_write_b64 v20, v[8:9] offset:224
	s_waitcnt lgkmcnt(0)
	s_barrier
	buffer_gl0_inv
	s_clause 0x1
	global_load_dwordx4 v[8:11], v28, s[12:13] offset:224
	global_load_dwordx4 v[12:15], v28, s[12:13] offset:240
	ds_read2_b64 v[16:19], v6 offset0:47 offset1:222
	ds_read2_b64 v[22:25], v7 offset0:13 offset1:188
	v_mov_b32_e32 v20, 0x578
	ds_read2_b32 v[26:27], v5 offset1:1
	v_lshlrev_b32_sdwa v28, v31, v32 dst_sel:DWORD dst_unused:UNUSED_PAD src0_sel:DWORD src1_sel:BYTE_0
	s_waitcnt vmcnt(0) lgkmcnt(0)
	s_barrier
	v_mul_u32_u24_sdwa v20, v29, v20 dst_sel:DWORD dst_unused:UNUSED_PAD src0_sel:WORD_0 src1_sel:DWORD
	buffer_gl0_inv
	v_add3_u32 v20, 0, v20, v28
	v_mul_f32_e32 v28, v9, v17
	v_mul_f32_e32 v9, v9, v16
	;; [unrolled: 1-line block ×8, first 2 shown]
	v_fma_f32 v16, v8, v16, -v28
	v_fmac_f32_e32 v9, v8, v17
	v_fma_f32 v8, v10, v18, -v29
	v_fmac_f32_e32 v11, v10, v19
	v_fma_f32 v10, v12, v22, -v30
	v_fmac_f32_e32 v13, v12, v23
	v_fmac_f32_e32 v15, v14, v25
	v_fma_f32 v14, v14, v24, -v31
	v_add_f32_e32 v12, v16, v26
	v_add_f32_e32 v17, v8, v10
	;; [unrolled: 1-line block ×6, first 2 shown]
	v_sub_f32_e32 v18, v9, v15
	v_sub_f32_e32 v19, v11, v13
	;; [unrolled: 1-line block ×10, first 2 shown]
	v_add_f32_e32 v12, v12, v8
	v_fma_f32 v8, -0.5, v17, v26
	v_add_f32_e32 v11, v29, v11
	v_fma_f32 v9, -0.5, v30, v27
	v_fma_f32 v26, -0.5, v24, v26
	v_fmac_f32_e32 v27, -0.5, v34
	v_sub_f32_e32 v33, v15, v13
	v_add_f32_e32 v17, v22, v23
	v_add_f32_e32 v22, v25, v28
	v_add_f32_e32 v25, v12, v10
	v_fmamk_f32 v10, v18, 0x3f737871, v8
	v_add_f32_e32 v28, v11, v13
	v_fmamk_f32 v11, v16, 0xbf737871, v9
	v_sub_f32_e32 v36, v13, v15
	v_fmamk_f32 v12, v19, 0xbf737871, v26
	v_fmac_f32_e32 v26, 0x3f737871, v19
	v_fmamk_f32 v13, v31, 0x3f737871, v27
	v_fmac_f32_e32 v27, 0xbf737871, v31
	v_fmac_f32_e32 v8, 0xbf737871, v18
	;; [unrolled: 1-line block ×3, first 2 shown]
	v_add_f32_e32 v23, v32, v33
	v_fmac_f32_e32 v10, 0x3f167918, v19
	v_fmac_f32_e32 v11, 0xbf167918, v31
	v_add_f32_e32 v24, v35, v36
	v_fmac_f32_e32 v12, 0x3f167918, v18
	v_fmac_f32_e32 v26, 0xbf167918, v18
	;; [unrolled: 1-line block ×6, first 2 shown]
	v_add_f32_e32 v14, v25, v14
	v_add_f32_e32 v15, v28, v15
	v_fmac_f32_e32 v10, 0x3e9e377a, v17
	v_fmac_f32_e32 v11, 0x3e9e377a, v23
	;; [unrolled: 1-line block ×8, first 2 shown]
	ds_write2_b64 v20, v[14:15], v[10:11] offset1:35
	ds_write2_b64 v20, v[12:13], v[26:27] offset0:70 offset1:105
	ds_write_b64 v20, v[8:9] offset:1120
	s_waitcnt lgkmcnt(0)
	s_barrier
	buffer_gl0_inv
	s_and_saveexec_b32 s0, vcc_lo
	s_cbranch_execz .LBB0_17
; %bb.16:
	v_lshlrev_b32_e32 v8, 2, v0
	v_mov_b32_e32 v9, 0
	v_mul_lo_u32 v0, s5, v3
	v_mul_lo_u32 v20, s4, v4
	v_mad_u64_u32 v[3:4], null, s4, v3, 0
	v_lshlrev_b64 v[8:9], 3, v[8:9]
	v_mad_u64_u32 v[26:27], null, s2, v21, 0
	v_add_nc_u32_e32 v36, 0xaf, v21
	v_add_nc_u32_e32 v37, 0x15e, v21
	;; [unrolled: 1-line block ×3, first 2 shown]
	v_add_co_u32 v12, vcc_lo, s12, v8
	v_add_co_ci_u32_e32 v13, vcc_lo, s13, v9, vcc_lo
	v_add_nc_u32_e32 v39, 0x2bc, v21
	v_mad_u64_u32 v[28:29], null, s2, v36, 0
	s_clause 0x1
	global_load_dwordx4 v[8:11], v[12:13], off offset:1344
	global_load_dwordx4 v[12:15], v[12:13], off offset:1360
	ds_read2_b64 v[16:19], v6 offset0:47 offset1:222
	ds_read2_b64 v[22:25], v7 offset0:13 offset1:188
	ds_read2_b32 v[5:6], v5 offset1:1
	v_lshlrev_b64 v[1:2], 3, v[1:2]
	v_mad_u64_u32 v[30:31], null, s2, v37, 0
	v_add3_u32 v4, v4, v20, v0
	v_mov_b32_e32 v0, v27
	v_mad_u64_u32 v[32:33], null, s2, v38, 0
	v_mad_u64_u32 v[34:35], null, s2, v39, 0
	;; [unrolled: 1-line block ×3, first 2 shown]
	v_mov_b32_e32 v0, v29
	v_mov_b32_e32 v7, v31
	v_lshlrev_b64 v[3:4], 3, v[3:4]
	v_mov_b32_e32 v21, v33
	v_mov_b32_e32 v27, v35
	v_mad_u64_u32 v[35:36], null, s3, v36, v[0:1]
	v_add_co_u32 v0, vcc_lo, s10, v3
	v_add_co_ci_u32_e32 v3, vcc_lo, s11, v4, vcc_lo
	v_mov_b32_e32 v29, v35
	v_add_co_u32 v4, vcc_lo, v0, v1
	s_waitcnt vmcnt(1)
	v_mad_u64_u32 v[36:37], null, s3, v37, v[7:8]
	s_waitcnt lgkmcnt(1)
	v_mad_u64_u32 v[37:38], null, s3, v38, v[21:22]
	v_mad_u64_u32 v[38:39], null, s3, v39, v[27:28]
	v_mov_b32_e32 v27, v20
	v_add_co_ci_u32_e32 v39, vcc_lo, v3, v2, vcc_lo
	v_mov_b32_e32 v31, v36
	v_mov_b32_e32 v33, v37
	v_lshlrev_b64 v[0:1], 3, v[26:27]
	v_lshlrev_b64 v[2:3], 3, v[28:29]
	v_mov_b32_e32 v35, v38
	v_lshlrev_b64 v[20:21], 3, v[30:31]
	v_lshlrev_b64 v[26:27], 3, v[32:33]
	v_mul_f32_e32 v30, v8, v17
	v_add_co_u32 v0, vcc_lo, v4, v0
	v_add_co_ci_u32_e32 v1, vcc_lo, v39, v1, vcc_lo
	v_mul_f32_e32 v31, v10, v19
	s_waitcnt vmcnt(0)
	v_mul_f32_e32 v32, v14, v25
	v_mul_f32_e32 v33, v12, v23
	;; [unrolled: 1-line block ×4, first 2 shown]
	v_add_co_u32 v2, vcc_lo, v4, v2
	v_mul_f32_e32 v17, v9, v17
	v_mul_f32_e32 v23, v15, v25
	v_add_co_ci_u32_e32 v3, vcc_lo, v39, v3, vcc_lo
	v_lshlrev_b64 v[28:29], 3, v[34:35]
	v_add_co_u32 v20, vcc_lo, v4, v20
	v_fmac_f32_e32 v30, v9, v16
	v_fmac_f32_e32 v31, v11, v18
	;; [unrolled: 1-line block ×4, first 2 shown]
	v_fma_f32 v11, v10, v18, -v7
	v_fma_f32 v15, v12, v22, -v19
	v_add_co_ci_u32_e32 v21, vcc_lo, v39, v21, vcc_lo
	v_fma_f32 v9, v8, v16, -v17
	v_fma_f32 v17, v14, v24, -v23
	v_add_co_u32 v26, vcc_lo, v4, v26
	v_add_co_ci_u32_e32 v27, vcc_lo, v39, v27, vcc_lo
	v_add_co_u32 v7, vcc_lo, v4, v28
	v_sub_f32_e32 v4, v30, v31
	v_sub_f32_e32 v10, v32, v33
	v_add_f32_e32 v12, v31, v33
	v_add_f32_e32 v19, v11, v15
	;; [unrolled: 1-line block ×4, first 2 shown]
	v_sub_f32_e32 v22, v30, v32
	v_sub_f32_e32 v24, v31, v30
	;; [unrolled: 1-line block ×3, first 2 shown]
	s_waitcnt lgkmcnt(0)
	v_add_f32_e32 v30, v30, v6
	v_add_f32_e32 v36, v9, v5
	v_add_co_ci_u32_e32 v8, vcc_lo, v39, v29, vcc_lo
	v_sub_f32_e32 v18, v9, v17
	v_sub_f32_e32 v13, v9, v11
	;; [unrolled: 1-line block ×3, first 2 shown]
	v_add_f32_e32 v4, v4, v10
	v_fma_f32 v10, -0.5, v12, v6
	v_fma_f32 v9, -0.5, v19, v5
	v_sub_f32_e32 v16, v11, v15
	v_sub_f32_e32 v14, v17, v15
	;; [unrolled: 1-line block ×3, first 2 shown]
	v_fma_f32 v6, -0.5, v28, v6
	v_fma_f32 v5, -0.5, v35, v5
	v_add_f32_e32 v19, v24, v25
	v_add_f32_e32 v25, v31, v30
	;; [unrolled: 1-line block ×3, first 2 shown]
	v_fmamk_f32 v12, v18, 0x3f737871, v10
	v_fmamk_f32 v11, v22, 0xbf737871, v9
	v_fmac_f32_e32 v10, 0xbf737871, v18
	v_fmac_f32_e32 v9, 0x3f737871, v22
	v_sub_f32_e32 v34, v15, v17
	v_add_f32_e32 v37, v13, v14
	v_fmamk_f32 v14, v16, 0x3f737871, v6
	v_fmamk_f32 v13, v23, 0xbf737871, v5
	v_fmac_f32_e32 v6, 0xbf737871, v16
	v_fmac_f32_e32 v5, 0x3f737871, v23
	v_add_f32_e32 v25, v25, v33
	v_add_f32_e32 v15, v15, v28
	v_fmac_f32_e32 v10, 0xbf167918, v16
	v_fmac_f32_e32 v9, 0x3f167918, v23
	v_add_f32_e32 v24, v29, v34
	v_fmac_f32_e32 v14, 0xbf167918, v18
	v_fmac_f32_e32 v13, 0x3f167918, v22
	;; [unrolled: 1-line block ×6, first 2 shown]
	v_add_f32_e32 v16, v32, v25
	v_add_f32_e32 v15, v17, v15
	v_fmac_f32_e32 v10, 0x3e9e377a, v4
	v_fmac_f32_e32 v9, 0x3e9e377a, v37
	;; [unrolled: 1-line block ×8, first 2 shown]
	global_store_dwordx2 v[0:1], v[15:16], off
	global_store_dwordx2 v[2:3], v[9:10], off
	;; [unrolled: 1-line block ×5, first 2 shown]
.LBB0_17:
	s_endpgm
	.section	.rodata,"a",@progbits
	.p2align	6, 0x0
	.amdhsa_kernel fft_rtc_fwd_len875_factors_7_5_5_5_wgs_175_tpt_175_sp_op_CI_CI_sbrr_dirReg
		.amdhsa_group_segment_fixed_size 0
		.amdhsa_private_segment_fixed_size 0
		.amdhsa_kernarg_size 104
		.amdhsa_user_sgpr_count 6
		.amdhsa_user_sgpr_private_segment_buffer 1
		.amdhsa_user_sgpr_dispatch_ptr 0
		.amdhsa_user_sgpr_queue_ptr 0
		.amdhsa_user_sgpr_kernarg_segment_ptr 1
		.amdhsa_user_sgpr_dispatch_id 0
		.amdhsa_user_sgpr_flat_scratch_init 0
		.amdhsa_user_sgpr_private_segment_size 0
		.amdhsa_wavefront_size32 1
		.amdhsa_uses_dynamic_stack 0
		.amdhsa_system_sgpr_private_segment_wavefront_offset 0
		.amdhsa_system_sgpr_workgroup_id_x 1
		.amdhsa_system_sgpr_workgroup_id_y 0
		.amdhsa_system_sgpr_workgroup_id_z 0
		.amdhsa_system_sgpr_workgroup_info 0
		.amdhsa_system_vgpr_workitem_id 0
		.amdhsa_next_free_vgpr 41
		.amdhsa_next_free_sgpr 31
		.amdhsa_reserve_vcc 1
		.amdhsa_reserve_flat_scratch 0
		.amdhsa_float_round_mode_32 0
		.amdhsa_float_round_mode_16_64 0
		.amdhsa_float_denorm_mode_32 3
		.amdhsa_float_denorm_mode_16_64 3
		.amdhsa_dx10_clamp 1
		.amdhsa_ieee_mode 1
		.amdhsa_fp16_overflow 0
		.amdhsa_workgroup_processor_mode 1
		.amdhsa_memory_ordered 1
		.amdhsa_forward_progress 0
		.amdhsa_shared_vgpr_count 0
		.amdhsa_exception_fp_ieee_invalid_op 0
		.amdhsa_exception_fp_denorm_src 0
		.amdhsa_exception_fp_ieee_div_zero 0
		.amdhsa_exception_fp_ieee_overflow 0
		.amdhsa_exception_fp_ieee_underflow 0
		.amdhsa_exception_fp_ieee_inexact 0
		.amdhsa_exception_int_div_zero 0
	.end_amdhsa_kernel
	.text
.Lfunc_end0:
	.size	fft_rtc_fwd_len875_factors_7_5_5_5_wgs_175_tpt_175_sp_op_CI_CI_sbrr_dirReg, .Lfunc_end0-fft_rtc_fwd_len875_factors_7_5_5_5_wgs_175_tpt_175_sp_op_CI_CI_sbrr_dirReg
                                        ; -- End function
	.section	.AMDGPU.csdata,"",@progbits
; Kernel info:
; codeLenInByte = 4508
; NumSgprs: 33
; NumVgprs: 41
; ScratchSize: 0
; MemoryBound: 0
; FloatMode: 240
; IeeeMode: 1
; LDSByteSize: 0 bytes/workgroup (compile time only)
; SGPRBlocks: 4
; VGPRBlocks: 5
; NumSGPRsForWavesPerEU: 33
; NumVGPRsForWavesPerEU: 41
; Occupancy: 15
; WaveLimiterHint : 1
; COMPUTE_PGM_RSRC2:SCRATCH_EN: 0
; COMPUTE_PGM_RSRC2:USER_SGPR: 6
; COMPUTE_PGM_RSRC2:TRAP_HANDLER: 0
; COMPUTE_PGM_RSRC2:TGID_X_EN: 1
; COMPUTE_PGM_RSRC2:TGID_Y_EN: 0
; COMPUTE_PGM_RSRC2:TGID_Z_EN: 0
; COMPUTE_PGM_RSRC2:TIDIG_COMP_CNT: 0
	.text
	.p2alignl 6, 3214868480
	.fill 48, 4, 3214868480
	.type	__hip_cuid_d7135fcfd9698bc7,@object ; @__hip_cuid_d7135fcfd9698bc7
	.section	.bss,"aw",@nobits
	.globl	__hip_cuid_d7135fcfd9698bc7
__hip_cuid_d7135fcfd9698bc7:
	.byte	0                               ; 0x0
	.size	__hip_cuid_d7135fcfd9698bc7, 1

	.ident	"AMD clang version 19.0.0git (https://github.com/RadeonOpenCompute/llvm-project roc-6.4.0 25133 c7fe45cf4b819c5991fe208aaa96edf142730f1d)"
	.section	".note.GNU-stack","",@progbits
	.addrsig
	.addrsig_sym __hip_cuid_d7135fcfd9698bc7
	.amdgpu_metadata
---
amdhsa.kernels:
  - .args:
      - .actual_access:  read_only
        .address_space:  global
        .offset:         0
        .size:           8
        .value_kind:     global_buffer
      - .offset:         8
        .size:           8
        .value_kind:     by_value
      - .actual_access:  read_only
        .address_space:  global
        .offset:         16
        .size:           8
        .value_kind:     global_buffer
      - .actual_access:  read_only
        .address_space:  global
        .offset:         24
        .size:           8
        .value_kind:     global_buffer
      - .actual_access:  read_only
        .address_space:  global
        .offset:         32
        .size:           8
        .value_kind:     global_buffer
      - .offset:         40
        .size:           8
        .value_kind:     by_value
      - .actual_access:  read_only
        .address_space:  global
        .offset:         48
        .size:           8
        .value_kind:     global_buffer
      - .actual_access:  read_only
        .address_space:  global
        .offset:         56
        .size:           8
        .value_kind:     global_buffer
      - .offset:         64
        .size:           4
        .value_kind:     by_value
      - .actual_access:  read_only
        .address_space:  global
        .offset:         72
        .size:           8
        .value_kind:     global_buffer
      - .actual_access:  read_only
        .address_space:  global
        .offset:         80
        .size:           8
        .value_kind:     global_buffer
      - .actual_access:  read_only
        .address_space:  global
        .offset:         88
        .size:           8
        .value_kind:     global_buffer
      - .actual_access:  write_only
        .address_space:  global
        .offset:         96
        .size:           8
        .value_kind:     global_buffer
    .group_segment_fixed_size: 0
    .kernarg_segment_align: 8
    .kernarg_segment_size: 104
    .language:       OpenCL C
    .language_version:
      - 2
      - 0
    .max_flat_workgroup_size: 175
    .name:           fft_rtc_fwd_len875_factors_7_5_5_5_wgs_175_tpt_175_sp_op_CI_CI_sbrr_dirReg
    .private_segment_fixed_size: 0
    .sgpr_count:     33
    .sgpr_spill_count: 0
    .symbol:         fft_rtc_fwd_len875_factors_7_5_5_5_wgs_175_tpt_175_sp_op_CI_CI_sbrr_dirReg.kd
    .uniform_work_group_size: 1
    .uses_dynamic_stack: false
    .vgpr_count:     41
    .vgpr_spill_count: 0
    .wavefront_size: 32
    .workgroup_processor_mode: 1
amdhsa.target:   amdgcn-amd-amdhsa--gfx1030
amdhsa.version:
  - 1
  - 2
...

	.end_amdgpu_metadata
